;; amdgpu-corpus repo=ROCm/rocFFT kind=compiled arch=gfx906 opt=O3
	.text
	.amdgcn_target "amdgcn-amd-amdhsa--gfx906"
	.amdhsa_code_object_version 6
	.protected	fft_rtc_fwd_len1287_factors_3_13_3_11_wgs_117_tpt_117_sp_ip_CI_sbrr_dirReg ; -- Begin function fft_rtc_fwd_len1287_factors_3_13_3_11_wgs_117_tpt_117_sp_ip_CI_sbrr_dirReg
	.globl	fft_rtc_fwd_len1287_factors_3_13_3_11_wgs_117_tpt_117_sp_ip_CI_sbrr_dirReg
	.p2align	8
	.type	fft_rtc_fwd_len1287_factors_3_13_3_11_wgs_117_tpt_117_sp_ip_CI_sbrr_dirReg,@function
fft_rtc_fwd_len1287_factors_3_13_3_11_wgs_117_tpt_117_sp_ip_CI_sbrr_dirReg: ; @fft_rtc_fwd_len1287_factors_3_13_3_11_wgs_117_tpt_117_sp_ip_CI_sbrr_dirReg
; %bb.0:
	s_load_dwordx2 s[2:3], s[4:5], 0x18
	s_load_dwordx4 s[8:11], s[4:5], 0x0
	s_load_dwordx2 s[14:15], s[4:5], 0x50
	v_mul_u32_u24_e32 v1, 0x231, v0
	v_add_u32_sdwa v5, s6, v1 dst_sel:DWORD dst_unused:UNUSED_PAD src0_sel:DWORD src1_sel:WORD_1
	s_waitcnt lgkmcnt(0)
	s_load_dwordx2 s[12:13], s[2:3], 0x0
	v_cmp_lt_u64_e64 s[0:1], s[10:11], 2
	v_mov_b32_e32 v3, 0
	v_mov_b32_e32 v1, 0
	;; [unrolled: 1-line block ×3, first 2 shown]
	s_and_b64 vcc, exec, s[0:1]
	v_mov_b32_e32 v2, 0
	s_cbranch_vccnz .LBB0_8
; %bb.1:
	s_load_dwordx2 s[0:1], s[4:5], 0x10
	s_add_u32 s6, s2, 8
	s_addc_u32 s7, s3, 0
	v_mov_b32_e32 v1, 0
	v_mov_b32_e32 v2, 0
	s_waitcnt lgkmcnt(0)
	s_add_u32 s16, s0, 8
	s_addc_u32 s17, s1, 0
	s_mov_b64 s[18:19], 1
.LBB0_2:                                ; =>This Inner Loop Header: Depth=1
	s_load_dwordx2 s[20:21], s[16:17], 0x0
                                        ; implicit-def: $vgpr7_vgpr8
	s_waitcnt lgkmcnt(0)
	v_or_b32_e32 v4, s21, v6
	v_cmp_ne_u64_e32 vcc, 0, v[3:4]
	s_and_saveexec_b64 s[0:1], vcc
	s_xor_b64 s[22:23], exec, s[0:1]
	s_cbranch_execz .LBB0_4
; %bb.3:                                ;   in Loop: Header=BB0_2 Depth=1
	v_cvt_f32_u32_e32 v4, s20
	v_cvt_f32_u32_e32 v7, s21
	s_sub_u32 s0, 0, s20
	s_subb_u32 s1, 0, s21
	v_mac_f32_e32 v4, 0x4f800000, v7
	v_rcp_f32_e32 v4, v4
	v_mul_f32_e32 v4, 0x5f7ffffc, v4
	v_mul_f32_e32 v7, 0x2f800000, v4
	v_trunc_f32_e32 v7, v7
	v_mac_f32_e32 v4, 0xcf800000, v7
	v_cvt_u32_f32_e32 v7, v7
	v_cvt_u32_f32_e32 v4, v4
	v_mul_lo_u32 v8, s0, v7
	v_mul_hi_u32 v9, s0, v4
	v_mul_lo_u32 v11, s1, v4
	v_mul_lo_u32 v10, s0, v4
	v_add_u32_e32 v8, v9, v8
	v_add_u32_e32 v8, v8, v11
	v_mul_hi_u32 v9, v4, v10
	v_mul_lo_u32 v11, v4, v8
	v_mul_hi_u32 v13, v4, v8
	v_mul_hi_u32 v12, v7, v10
	v_mul_lo_u32 v10, v7, v10
	v_mul_hi_u32 v14, v7, v8
	v_add_co_u32_e32 v9, vcc, v9, v11
	v_addc_co_u32_e32 v11, vcc, 0, v13, vcc
	v_mul_lo_u32 v8, v7, v8
	v_add_co_u32_e32 v9, vcc, v9, v10
	v_addc_co_u32_e32 v9, vcc, v11, v12, vcc
	v_addc_co_u32_e32 v10, vcc, 0, v14, vcc
	v_add_co_u32_e32 v8, vcc, v9, v8
	v_addc_co_u32_e32 v9, vcc, 0, v10, vcc
	v_add_co_u32_e32 v4, vcc, v4, v8
	v_addc_co_u32_e32 v7, vcc, v7, v9, vcc
	v_mul_lo_u32 v8, s0, v7
	v_mul_hi_u32 v9, s0, v4
	v_mul_lo_u32 v10, s1, v4
	v_mul_lo_u32 v11, s0, v4
	v_add_u32_e32 v8, v9, v8
	v_add_u32_e32 v8, v8, v10
	v_mul_lo_u32 v12, v4, v8
	v_mul_hi_u32 v13, v4, v11
	v_mul_hi_u32 v14, v4, v8
	;; [unrolled: 1-line block ×3, first 2 shown]
	v_mul_lo_u32 v11, v7, v11
	v_mul_hi_u32 v9, v7, v8
	v_add_co_u32_e32 v12, vcc, v13, v12
	v_addc_co_u32_e32 v13, vcc, 0, v14, vcc
	v_mul_lo_u32 v8, v7, v8
	v_add_co_u32_e32 v11, vcc, v12, v11
	v_addc_co_u32_e32 v10, vcc, v13, v10, vcc
	v_addc_co_u32_e32 v9, vcc, 0, v9, vcc
	v_add_co_u32_e32 v8, vcc, v10, v8
	v_addc_co_u32_e32 v9, vcc, 0, v9, vcc
	v_add_co_u32_e32 v4, vcc, v4, v8
	v_addc_co_u32_e32 v9, vcc, v7, v9, vcc
	v_mad_u64_u32 v[7:8], s[0:1], v5, v9, 0
	v_mul_hi_u32 v10, v5, v4
	v_add_co_u32_e32 v11, vcc, v10, v7
	v_addc_co_u32_e32 v12, vcc, 0, v8, vcc
	v_mad_u64_u32 v[7:8], s[0:1], v6, v4, 0
	v_mad_u64_u32 v[9:10], s[0:1], v6, v9, 0
	v_add_co_u32_e32 v4, vcc, v11, v7
	v_addc_co_u32_e32 v4, vcc, v12, v8, vcc
	v_addc_co_u32_e32 v7, vcc, 0, v10, vcc
	v_add_co_u32_e32 v4, vcc, v4, v9
	v_addc_co_u32_e32 v9, vcc, 0, v7, vcc
	v_mul_lo_u32 v10, s21, v4
	v_mul_lo_u32 v11, s20, v9
	v_mad_u64_u32 v[7:8], s[0:1], s20, v4, 0
	v_add3_u32 v8, v8, v11, v10
	v_sub_u32_e32 v10, v6, v8
	v_mov_b32_e32 v11, s21
	v_sub_co_u32_e32 v7, vcc, v5, v7
	v_subb_co_u32_e64 v10, s[0:1], v10, v11, vcc
	v_subrev_co_u32_e64 v11, s[0:1], s20, v7
	v_subbrev_co_u32_e64 v10, s[0:1], 0, v10, s[0:1]
	v_cmp_le_u32_e64 s[0:1], s21, v10
	v_cndmask_b32_e64 v12, 0, -1, s[0:1]
	v_cmp_le_u32_e64 s[0:1], s20, v11
	v_cndmask_b32_e64 v11, 0, -1, s[0:1]
	v_cmp_eq_u32_e64 s[0:1], s21, v10
	v_cndmask_b32_e64 v10, v12, v11, s[0:1]
	v_add_co_u32_e64 v11, s[0:1], 2, v4
	v_addc_co_u32_e64 v12, s[0:1], 0, v9, s[0:1]
	v_add_co_u32_e64 v13, s[0:1], 1, v4
	v_addc_co_u32_e64 v14, s[0:1], 0, v9, s[0:1]
	v_subb_co_u32_e32 v8, vcc, v6, v8, vcc
	v_cmp_ne_u32_e64 s[0:1], 0, v10
	v_cmp_le_u32_e32 vcc, s21, v8
	v_cndmask_b32_e64 v10, v14, v12, s[0:1]
	v_cndmask_b32_e64 v12, 0, -1, vcc
	v_cmp_le_u32_e32 vcc, s20, v7
	v_cndmask_b32_e64 v7, 0, -1, vcc
	v_cmp_eq_u32_e32 vcc, s21, v8
	v_cndmask_b32_e32 v7, v12, v7, vcc
	v_cmp_ne_u32_e32 vcc, 0, v7
	v_cndmask_b32_e64 v7, v13, v11, s[0:1]
	v_cndmask_b32_e32 v8, v9, v10, vcc
	v_cndmask_b32_e32 v7, v4, v7, vcc
.LBB0_4:                                ;   in Loop: Header=BB0_2 Depth=1
	s_andn2_saveexec_b64 s[0:1], s[22:23]
	s_cbranch_execz .LBB0_6
; %bb.5:                                ;   in Loop: Header=BB0_2 Depth=1
	v_cvt_f32_u32_e32 v4, s20
	s_sub_i32 s22, 0, s20
	v_rcp_iflag_f32_e32 v4, v4
	v_mul_f32_e32 v4, 0x4f7ffffe, v4
	v_cvt_u32_f32_e32 v4, v4
	v_mul_lo_u32 v7, s22, v4
	v_mul_hi_u32 v7, v4, v7
	v_add_u32_e32 v4, v4, v7
	v_mul_hi_u32 v4, v5, v4
	v_mul_lo_u32 v7, v4, s20
	v_add_u32_e32 v8, 1, v4
	v_sub_u32_e32 v7, v5, v7
	v_subrev_u32_e32 v9, s20, v7
	v_cmp_le_u32_e32 vcc, s20, v7
	v_cndmask_b32_e32 v7, v7, v9, vcc
	v_cndmask_b32_e32 v4, v4, v8, vcc
	v_add_u32_e32 v8, 1, v4
	v_cmp_le_u32_e32 vcc, s20, v7
	v_cndmask_b32_e32 v7, v4, v8, vcc
	v_mov_b32_e32 v8, v3
.LBB0_6:                                ;   in Loop: Header=BB0_2 Depth=1
	s_or_b64 exec, exec, s[0:1]
	v_mul_lo_u32 v4, v8, s20
	v_mul_lo_u32 v11, v7, s21
	v_mad_u64_u32 v[9:10], s[0:1], v7, s20, 0
	s_load_dwordx2 s[0:1], s[6:7], 0x0
	s_add_u32 s18, s18, 1
	v_add3_u32 v4, v10, v11, v4
	v_sub_co_u32_e32 v5, vcc, v5, v9
	v_subb_co_u32_e32 v4, vcc, v6, v4, vcc
	s_waitcnt lgkmcnt(0)
	v_mul_lo_u32 v4, s0, v4
	v_mul_lo_u32 v6, s1, v5
	v_mad_u64_u32 v[1:2], s[0:1], s0, v5, v[1:2]
	s_addc_u32 s19, s19, 0
	s_add_u32 s6, s6, 8
	v_add3_u32 v2, v6, v2, v4
	v_mov_b32_e32 v4, s10
	v_mov_b32_e32 v5, s11
	s_addc_u32 s7, s7, 0
	v_cmp_ge_u64_e32 vcc, s[18:19], v[4:5]
	s_add_u32 s16, s16, 8
	s_addc_u32 s17, s17, 0
	s_cbranch_vccnz .LBB0_9
; %bb.7:                                ;   in Loop: Header=BB0_2 Depth=1
	v_mov_b32_e32 v5, v7
	v_mov_b32_e32 v6, v8
	s_branch .LBB0_2
.LBB0_8:
	v_mov_b32_e32 v8, v6
	v_mov_b32_e32 v7, v5
.LBB0_9:
	s_lshl_b64 s[0:1], s[10:11], 3
	s_add_u32 s0, s2, s0
	s_addc_u32 s1, s3, s1
	s_load_dwordx2 s[2:3], s[0:1], 0x0
	s_load_dwordx2 s[6:7], s[4:5], 0x20
                                        ; implicit-def: $sgpr4
                                        ; implicit-def: $vgpr30
                                        ; implicit-def: $vgpr31
	s_waitcnt lgkmcnt(0)
	v_mad_u64_u32 v[1:2], s[0:1], s2, v7, v[1:2]
	s_mov_b32 s0, 0x2302303
	v_mul_lo_u32 v3, s2, v8
	v_mul_lo_u32 v4, s3, v7
	v_mul_hi_u32 v5, v0, s0
	v_cmp_gt_u64_e32 vcc, s[6:7], v[7:8]
	v_cmp_le_u64_e64 s[0:1], s[6:7], v[7:8]
	v_add3_u32 v2, v4, v2, v3
	v_mul_u32_u24_e32 v3, 0x75, v5
	v_sub_u32_e32 v29, v0, v3
	s_and_saveexec_b64 s[2:3], s[0:1]
	s_xor_b64 s[0:1], exec, s[2:3]
; %bb.10:
	v_add_u32_e32 v30, 0x75, v29
	v_add_u32_e32 v31, 0xea, v29
	s_mov_b32 s4, 0
; %bb.11:
	s_or_saveexec_b64 s[2:3], s[0:1]
	v_lshlrev_b64 v[24:25], 3, v[1:2]
	v_mov_b32_e32 v28, s4
                                        ; implicit-def: $vgpr5
                                        ; implicit-def: $vgpr7
                                        ; implicit-def: $vgpr21
                                        ; implicit-def: $vgpr11
                                        ; implicit-def: $vgpr15
                                        ; implicit-def: $vgpr17
                                        ; implicit-def: $vgpr27
                                        ; implicit-def: $vgpr23
                                        ; implicit-def: $vgpr3
                                        ; implicit-def: $vgpr9
                                        ; implicit-def: $vgpr13
                                        ; implicit-def: $vgpr19
	s_xor_b64 exec, exec, s[2:3]
	s_cbranch_execz .LBB0_15
; %bb.12:
	v_mad_u64_u32 v[2:3], s[0:1], s12, v29, 0
	v_add_u32_e32 v7, 0x1ad, v29
	v_mad_u64_u32 v[4:5], s[0:1], s12, v7, 0
	v_mov_b32_e32 v0, v3
	v_mad_u64_u32 v[0:1], s[0:1], s13, v29, v[0:1]
	v_mov_b32_e32 v6, s15
	v_add_u32_e32 v8, 0x35a, v29
	v_mov_b32_e32 v3, v0
	v_add_co_u32_e64 v0, s[0:1], s14, v24
	v_addc_co_u32_e64 v1, s[0:1], v6, v25, s[0:1]
	v_mad_u64_u32 v[5:6], s[0:1], s13, v7, v[5:6]
	v_mad_u64_u32 v[6:7], s[0:1], s12, v8, 0
	v_lshlrev_b64 v[2:3], 3, v[2:3]
	v_add_u32_e32 v30, 0x75, v29
	v_add_co_u32_e64 v18, s[0:1], v0, v2
	v_addc_co_u32_e64 v19, s[0:1], v1, v3, s[0:1]
	v_lshlrev_b64 v[2:3], 3, v[4:5]
	v_mov_b32_e32 v4, v7
	v_mad_u64_u32 v[4:5], s[0:1], s13, v8, v[4:5]
	v_mad_u64_u32 v[8:9], s[0:1], s12, v30, 0
	v_add_co_u32_e64 v22, s[0:1], v0, v2
	v_mov_b32_e32 v7, v4
	v_mov_b32_e32 v4, v9
	v_addc_co_u32_e64 v23, s[0:1], v1, v3, s[0:1]
	v_lshlrev_b64 v[2:3], 3, v[6:7]
	v_mad_u64_u32 v[4:5], s[0:1], s13, v30, v[4:5]
	v_add_u32_e32 v7, 0x222, v29
	v_mad_u64_u32 v[5:6], s[0:1], s12, v7, 0
	v_add_co_u32_e64 v26, s[0:1], v0, v2
	v_mov_b32_e32 v9, v4
	v_mov_b32_e32 v4, v6
	v_addc_co_u32_e64 v27, s[0:1], v1, v3, s[0:1]
	v_lshlrev_b64 v[2:3], 3, v[8:9]
	v_mad_u64_u32 v[6:7], s[0:1], s13, v7, v[4:5]
	v_add_u32_e32 v9, 0x3cf, v29
	v_mad_u64_u32 v[7:8], s[0:1], s12, v9, 0
	v_add_co_u32_e64 v32, s[0:1], v0, v2
	v_mov_b32_e32 v4, v8
	v_addc_co_u32_e64 v33, s[0:1], v1, v3, s[0:1]
	v_lshlrev_b64 v[2:3], 3, v[5:6]
	v_mad_u64_u32 v[4:5], s[0:1], s13, v9, v[4:5]
	v_add_u32_e32 v31, 0xea, v29
	v_mad_u64_u32 v[5:6], s[0:1], s12, v31, 0
	v_add_co_u32_e64 v34, s[0:1], v0, v2
	v_mov_b32_e32 v8, v4
	v_mov_b32_e32 v4, v6
	v_addc_co_u32_e64 v35, s[0:1], v1, v3, s[0:1]
	v_lshlrev_b64 v[2:3], 3, v[7:8]
	v_mad_u64_u32 v[6:7], s[0:1], s13, v31, v[4:5]
	v_add_u32_e32 v9, 0x297, v29
	v_mad_u64_u32 v[7:8], s[0:1], s12, v9, 0
	v_add_co_u32_e64 v36, s[0:1], v0, v2
	v_mov_b32_e32 v4, v8
	v_addc_co_u32_e64 v37, s[0:1], v1, v3, s[0:1]
	v_lshlrev_b64 v[2:3], 3, v[5:6]
	v_mad_u64_u32 v[4:5], s[0:1], s13, v9, v[4:5]
	v_add_u32_e32 v9, 0x444, v29
	v_mad_u64_u32 v[5:6], s[0:1], s12, v9, 0
	v_add_co_u32_e64 v38, s[0:1], v0, v2
	v_mov_b32_e32 v8, v4
	v_mov_b32_e32 v4, v6
	v_addc_co_u32_e64 v39, s[0:1], v1, v3, s[0:1]
	v_lshlrev_b64 v[2:3], 3, v[7:8]
	v_mad_u64_u32 v[6:7], s[0:1], s13, v9, v[4:5]
	v_add_co_u32_e64 v40, s[0:1], v0, v2
	v_addc_co_u32_e64 v41, s[0:1], v1, v3, s[0:1]
	v_lshlrev_b64 v[2:3], 3, v[5:6]
	v_add_co_u32_e64 v42, s[0:1], v0, v2
	v_addc_co_u32_e64 v43, s[0:1], v1, v3, s[0:1]
	global_load_dwordx2 v[2:3], v[42:43], off
	global_load_dwordx2 v[14:15], v[34:35], off
	;; [unrolled: 1-line block ×9, first 2 shown]
	s_movk_i32 s0, 0x4e
	v_cmp_gt_u32_e64 s[0:1], s0, v29
                                        ; implicit-def: $vgpr22
                                        ; implicit-def: $vgpr26
                                        ; implicit-def: $vgpr18
	s_and_saveexec_b64 s[4:5], s[0:1]
	s_cbranch_execz .LBB0_14
; %bb.13:
	v_add_u32_e32 v26, 0x15f, v29
	v_mad_u64_u32 v[18:19], s[0:1], s12, v26, 0
	v_add_u32_e32 v28, 0x30c, v29
	v_mad_u64_u32 v[22:23], s[0:1], s12, v28, 0
	s_waitcnt vmcnt(1)
	v_mad_u64_u32 v[26:27], s[0:1], s13, v26, v[19:20]
	v_add_u32_e32 v34, 0x4b9, v29
	v_mov_b32_e32 v19, v26
	v_mad_u64_u32 v[26:27], s[0:1], s13, v28, v[23:24]
	v_mad_u64_u32 v[27:28], s[0:1], s12, v34, 0
	v_lshlrev_b64 v[18:19], 3, v[18:19]
	v_mov_b32_e32 v23, v26
	v_add_co_u32_e64 v32, s[0:1], v0, v18
	v_addc_co_u32_e64 v33, s[0:1], v1, v19, s[0:1]
	v_lshlrev_b64 v[18:19], 3, v[22:23]
	v_mov_b32_e32 v22, v28
	v_mad_u64_u32 v[22:23], s[0:1], s13, v34, v[22:23]
	v_add_co_u32_e64 v34, s[0:1], v0, v18
	v_mov_b32_e32 v28, v22
	v_addc_co_u32_e64 v35, s[0:1], v1, v19, s[0:1]
	v_lshlrev_b64 v[18:19], 3, v[27:28]
	v_add_co_u32_e64 v0, s[0:1], v0, v18
	v_addc_co_u32_e64 v1, s[0:1], v1, v19, s[0:1]
	global_load_dwordx2 v[18:19], v[32:33], off
	global_load_dwordx2 v[22:23], v[34:35], off
	;; [unrolled: 1-line block ×3, first 2 shown]
.LBB0_14:
	s_or_b64 exec, exec, s[4:5]
	v_mov_b32_e32 v28, v29
.LBB0_15:
	s_or_b64 exec, exec, s[2:3]
	s_waitcnt vmcnt(2)
	v_add_f32_e32 v0, v4, v6
	s_waitcnt vmcnt(1)
	v_add_f32_e32 v32, v6, v20
	v_sub_f32_e32 v35, v6, v20
	s_waitcnt vmcnt(0)
	v_add_f32_e32 v6, v10, v14
	v_add_f32_e32 v6, v6, v16
	;; [unrolled: 1-line block ×3, first 2 shown]
	v_sub_f32_e32 v16, v14, v16
	v_add_f32_e32 v14, v8, v12
	v_add_f32_e32 v1, v5, v7
	;; [unrolled: 1-line block ×3, first 2 shown]
	v_sub_f32_e32 v33, v7, v21
	v_add_f32_e32 v34, v7, v21
	v_add_f32_e32 v7, v11, v15
	;; [unrolled: 1-line block ×4, first 2 shown]
	v_sub_f32_e32 v41, v8, v2
	v_add_f32_e32 v2, v22, v18
	v_add_f32_e32 v7, v7, v17
	v_sub_f32_e32 v37, v15, v17
	v_add_f32_e32 v17, v15, v17
	v_add_f32_e32 v15, v9, v13
	;; [unrolled: 1-line block ×7, first 2 shown]
	v_sub_f32_e32 v43, v23, v27
	v_add_f32_e32 v27, v27, v23
	v_add_f32_e32 v40, v3, v9
	;; [unrolled: 1-line block ×3, first 2 shown]
	v_fmac_f32_e32 v4, -0.5, v32
	v_fmac_f32_e32 v5, -0.5, v34
	;; [unrolled: 1-line block ×5, first 2 shown]
	v_sub_f32_e32 v39, v9, v3
	v_sub_f32_e32 v26, v22, v26
	v_mov_b32_e32 v2, v4
	v_mov_b32_e32 v3, v5
	;; [unrolled: 1-line block ×4, first 2 shown]
	v_fmac_f32_e32 v12, -0.5, v38
	v_fmac_f32_e32 v13, -0.5, v40
	;; [unrolled: 1-line block ×3, first 2 shown]
	v_mov_b32_e32 v17, v19
	v_fmac_f32_e32 v2, 0x3f5db3d7, v33
	v_fmac_f32_e32 v3, 0xbf5db3d7, v35
	;; [unrolled: 1-line block ×5, first 2 shown]
	v_mov_b32_e32 v22, v12
	v_mov_b32_e32 v23, v13
	;; [unrolled: 1-line block ×3, first 2 shown]
	v_fmac_f32_e32 v17, 0xbf5db3d7, v26
	v_fmac_f32_e32 v19, 0x3f5db3d7, v26
	v_mad_u32_u24 v26, v29, 24, 0
	v_mad_i32_i24 v27, v30, 24, 0
	s_movk_i32 s0, 0x4e
	v_fmac_f32_e32 v4, 0xbf5db3d7, v33
	v_fmac_f32_e32 v5, 0x3f5db3d7, v35
	;; [unrolled: 1-line block ×9, first 2 shown]
	ds_write2_b64 v26, v[0:1], v[2:3] offset1:1
	ds_write_b64 v26, v[4:5] offset:16
	ds_write2_b64 v27, v[6:7], v[8:9] offset1:1
	ds_write_b64 v27, v[10:11] offset:16
	v_mad_i32_i24 v27, v31, 24, 0
	v_cmp_gt_u32_e64 s[0:1], s0, v29
	ds_write2_b64 v27, v[20:21], v[22:23] offset1:1
	ds_write_b64 v27, v[12:13] offset:16
	s_and_saveexec_b64 s[2:3], s[0:1]
	s_cbranch_execz .LBB0_17
; %bb.16:
	v_add_u32_e32 v27, 0x20e8, v26
	ds_write2_b64 v27, v[14:15], v[16:17] offset1:1
	ds_write_b64 v26, v[18:19] offset:8440
.LBB0_17:
	s_or_b64 exec, exec, s[2:3]
	s_movk_i32 s2, 0x63
	v_cmp_gt_u32_e64 s[2:3], s2, v29
	s_waitcnt lgkmcnt(0)
	s_barrier
	s_waitcnt lgkmcnt(0)
                                        ; implicit-def: $vgpr27
	s_and_saveexec_b64 s[4:5], s[2:3]
	s_cbranch_execz .LBB0_19
; %bb.18:
	v_lshlrev_b32_e32 v0, 4, v29
	v_sub_u32_e32 v26, v26, v0
	v_add_u32_e32 v12, 0x1c00, v26
	v_add_u32_e32 v4, 0x400, v26
	;; [unrolled: 1-line block ×4, first 2 shown]
	ds_read2_b64 v[16:19], v12 offset0:94 offset1:193
	v_add_u32_e32 v12, 0x1800, v26
	ds_read2_b64 v[0:3], v26 offset1:99
	ds_read2_b64 v[4:7], v4 offset0:70 offset1:169
	ds_read2_b64 v[8:11], v8 offset0:140 offset1:239
	;; [unrolled: 1-line block ×4, first 2 shown]
	ds_read_b64 v[26:27], v26 offset:9504
.LBB0_19:
	s_or_b64 exec, exec, s[4:5]
	s_movk_i32 s4, 0xab
	v_mul_lo_u16_sdwa v32, v29, s4 dst_sel:DWORD dst_unused:UNUSED_PAD src0_sel:BYTE_0 src1_sel:DWORD
	v_lshrrev_b16_e32 v32, 9, v32
	v_mul_lo_u16_e32 v33, 3, v32
	v_sub_u16_e32 v33, v29, v33
	v_mov_b32_e32 v34, 12
	v_mul_u32_u24_sdwa v34, v33, v34 dst_sel:DWORD dst_unused:UNUSED_PAD src0_sel:BYTE_0 src1_sel:DWORD
	v_lshlrev_b32_e32 v34, 3, v34
	global_load_dwordx4 v[46:49], v34, s[8:9] offset:32
	global_load_dwordx4 v[50:53], v34, s[8:9] offset:48
	;; [unrolled: 1-line block ×4, first 2 shown]
	global_load_dwordx4 v[62:65], v34, s[8:9]
	global_load_dwordx4 v[66:69], v34, s[8:9] offset:80
	s_mov_b32 s6, 0x3f116cb1
	s_mov_b32 s7, 0xbeb58ec6
	;; [unrolled: 1-line block ×6, first 2 shown]
	s_waitcnt vmcnt(0) lgkmcnt(0)
	s_barrier
	v_mul_f32_e32 v70, v11, v47
	v_mul_f32_e32 v34, v10, v47
	;; [unrolled: 1-line block ×24, first 2 shown]
	v_fmac_f32_e32 v34, v11, v46
	v_fma_f32 v11, v20, v48, -v47
	v_fma_f32 v20, v22, v50, -v49
	;; [unrolled: 1-line block ×3, first 2 shown]
	v_fmac_f32_e32 v45, v3, v62
	v_fma_f32 v26, v26, v68, -v65
	v_fmac_f32_e32 v43, v27, v68
	v_fma_f32 v10, v10, v46, -v70
	;; [unrolled: 2-line block ×3, first 2 shown]
	v_fma_f32 v46, v8, v56, -v55
	v_fma_f32 v48, v4, v64, -v71
	v_fmac_f32_e32 v44, v5, v64
	v_fma_f32 v47, v18, v66, -v63
	v_fmac_f32_e32 v42, v19, v66
	v_sub_f32_e32 v55, v49, v26
	v_sub_f32_e32 v51, v45, v43
	v_fmac_f32_e32 v36, v23, v50
	v_fma_f32 v23, v6, v54, -v53
	v_fmac_f32_e32 v40, v7, v54
	v_fmac_f32_e32 v41, v9, v56
	v_fma_f32 v22, v16, v60, -v59
	v_fmac_f32_e32 v39, v17, v60
	v_add_f32_e32 v5, v45, v43
	v_sub_f32_e32 v56, v48, v47
	v_sub_f32_e32 v53, v44, v42
	v_mul_f32_e32 v59, 0xbf52af12, v51
	v_mul_f32_e32 v63, 0xbf52af12, v55
	v_fmac_f32_e32 v37, v13, v52
	v_fma_f32 v9, v14, v58, -v57
	v_fmac_f32_e32 v38, v15, v58
	v_add_f32_e32 v2, v49, v26
	v_add_f32_e32 v6, v44, v42
	v_sub_f32_e32 v52, v40, v39
	v_sub_f32_e32 v57, v23, v22
	v_mul_f32_e32 v62, 0xbf6f5d39, v56
	v_mul_f32_e32 v61, 0xbf6f5d39, v53
	v_fma_f32 v8, v5, s6, -v63
	v_mov_b32_e32 v13, v59
	v_add_f32_e32 v3, v48, v47
	v_add_f32_e32 v7, v40, v39
	v_mul_f32_e32 v60, 0xbe750f2a, v52
	v_mul_f32_e32 v64, 0xbe750f2a, v57
	v_fma_f32 v12, v6, s7, -v62
	v_mov_b32_e32 v14, v61
	v_add_f32_e32 v8, v1, v8
	v_fmac_f32_e32 v13, 0x3f116cb1, v2
	v_sub_f32_e32 v58, v41, v38
	v_add_f32_e32 v4, v23, v22
	v_mov_b32_e32 v15, v60
	v_fmac_f32_e32 v14, 0xbeb58ec6, v3
	v_add_f32_e32 v8, v12, v8
	v_add_f32_e32 v12, v0, v13
	v_fma_f32 v13, v7, s10, -v64
	v_mul_f32_e32 v67, 0x3f29c268, v58
	v_fmac_f32_e32 v15, 0xbf788fa5, v4
	v_add_f32_e32 v12, v14, v12
	v_add_f32_e32 v13, v13, v8
	;; [unrolled: 1-line block ×3, first 2 shown]
	v_mov_b32_e32 v14, v67
	v_sub_f32_e32 v66, v46, v9
	v_add_f32_e32 v12, v15, v12
	v_fmac_f32_e32 v14, 0xbf3f9e67, v8
	v_add_f32_e32 v18, v41, v38
	v_mul_f32_e32 v70, 0x3f29c268, v66
	v_sub_f32_e32 v65, v34, v37
	v_add_f32_e32 v12, v14, v12
	v_fma_f32 v14, v18, s11, -v70
	v_mul_f32_e32 v71, 0x3f7e222b, v65
	v_add_f32_e32 v13, v14, v13
	v_add_f32_e32 v19, v10, v21
	v_mov_b32_e32 v14, v71
	v_sub_f32_e32 v69, v10, v21
	v_fmac_f32_e32 v14, 0x3df6dbef, v19
	v_add_f32_e32 v27, v34, v37
	v_mul_f32_e32 v73, 0x3f7e222b, v69
	v_sub_f32_e32 v68, v35, v36
	v_add_f32_e32 v12, v14, v12
	v_fma_f32 v14, v27, s16, -v73
	v_mul_f32_e32 v74, 0x3eedf032, v68
	v_add_f32_e32 v13, v14, v13
	v_add_f32_e32 v50, v11, v20
	v_mov_b32_e32 v14, v74
	v_sub_f32_e32 v72, v11, v20
	v_fmac_f32_e32 v14, 0x3f62ad3f, v50
	v_add_f32_e32 v54, v35, v36
	v_mul_f32_e32 v75, 0x3eedf032, v72
	v_add_f32_e32 v12, v14, v12
	v_fma_f32 v14, v54, s17, -v75
	v_mul_f32_e32 v76, 0xbf7e222b, v51
	v_add_f32_e32 v13, v14, v13
	v_mov_b32_e32 v14, v76
	v_mul_f32_e32 v77, 0xbe750f2a, v53
	v_fmac_f32_e32 v14, 0x3df6dbef, v2
	v_mov_b32_e32 v15, v77
	v_add_f32_e32 v14, v0, v14
	v_fmac_f32_e32 v15, 0xbf788fa5, v3
	v_mul_f32_e32 v84, 0xbf7e222b, v55
	v_add_f32_e32 v14, v15, v14
	v_fma_f32 v15, v5, s16, -v84
	v_mul_f32_e32 v82, 0xbe750f2a, v56
	v_add_f32_e32 v15, v1, v15
	v_fma_f32 v16, v6, s10, -v82
	v_mul_f32_e32 v78, 0x3f6f5d39, v52
	v_add_f32_e32 v15, v16, v15
	v_mov_b32_e32 v16, v78
	v_fmac_f32_e32 v16, 0xbeb58ec6, v4
	v_mul_f32_e32 v83, 0x3f6f5d39, v57
	v_add_f32_e32 v14, v16, v14
	v_fma_f32 v16, v7, s7, -v83
	v_mul_f32_e32 v79, 0x3eedf032, v58
	v_add_f32_e32 v15, v16, v15
	v_mov_b32_e32 v16, v79
	v_fmac_f32_e32 v16, 0x3f62ad3f, v8
	;; [unrolled: 7-line block ×4, first 2 shown]
	v_mul_f32_e32 v87, 0xbf29c268, v72
	v_add_f32_e32 v14, v16, v14
	v_fma_f32 v16, v54, s11, -v87
	v_mul_f32_e32 v88, 0xbf6f5d39, v51
	v_add_f32_e32 v15, v16, v15
	v_mov_b32_e32 v16, v88
	v_mul_f32_e32 v89, 0x3f29c268, v53
	v_fmac_f32_e32 v16, 0xbeb58ec6, v2
	v_mov_b32_e32 v17, v89
	v_add_f32_e32 v16, v0, v16
	v_fmac_f32_e32 v17, 0xbf3f9e67, v3
	v_mul_f32_e32 v94, 0xbf6f5d39, v55
	v_add_f32_e32 v16, v17, v16
	v_fma_f32 v17, v5, s7, -v94
	v_mul_f32_e32 v95, 0x3f29c268, v56
	v_add_f32_e32 v17, v1, v17
	v_fma_f32 v90, v6, s11, -v95
	v_add_f32_e32 v17, v90, v17
	v_mul_f32_e32 v90, 0x3eedf032, v52
	v_mov_b32_e32 v91, v90
	v_fmac_f32_e32 v91, 0x3f62ad3f, v4
	v_mul_f32_e32 v96, 0x3eedf032, v57
	v_add_f32_e32 v16, v91, v16
	v_fma_f32 v91, v7, s17, -v96
	v_add_f32_e32 v17, v91, v17
	v_mul_f32_e32 v91, 0xbf7e222b, v58
	v_mov_b32_e32 v92, v91
	v_fmac_f32_e32 v92, 0x3df6dbef, v8
	;; [unrolled: 7-line block ×4, first 2 shown]
	v_add_f32_e32 v16, v99, v16
	v_mul_f32_e32 v99, 0x3f52af12, v72
	v_fma_f32 v100, v54, s6, -v99
	v_add_f32_e32 v17, v100, v17
	s_and_saveexec_b64 s[4:5], s[2:3]
	s_cbranch_execz .LBB0_21
; %bb.20:
	v_mul_f32_e32 v104, 0xbe750f2a, v55
	v_mov_b32_e32 v100, v104
	v_mul_f32_e32 v105, 0x3eedf032, v56
	v_fmac_f32_e32 v100, 0xbf788fa5, v5
	v_mov_b32_e32 v101, v105
	v_add_f32_e32 v100, v1, v100
	v_fmac_f32_e32 v101, 0x3f62ad3f, v6
	v_mul_f32_e32 v106, 0xbf29c268, v57
	v_add_f32_e32 v100, v101, v100
	v_mov_b32_e32 v101, v106
	v_fmac_f32_e32 v101, 0xbf3f9e67, v7
	v_mul_f32_e32 v107, 0x3f52af12, v66
	v_add_f32_e32 v100, v101, v100
	v_mov_b32_e32 v101, v107
	;; [unrolled: 4-line block ×4, first 2 shown]
	v_fmac_f32_e32 v101, 0x3df6dbef, v54
	v_mul_f32_e32 v110, 0xbe750f2a, v51
	v_add_f32_e32 v101, v101, v100
	v_fma_f32 v100, v2, s10, -v110
	v_mul_f32_e32 v111, 0x3eedf032, v53
	v_add_f32_e32 v100, v0, v100
	v_fma_f32 v102, v3, s17, -v111
	;; [unrolled: 3-line block ×6, first 2 shown]
	v_mul_f32_e32 v116, 0xbf29c268, v55
	v_add_f32_e32 v100, v102, v100
	v_mov_b32_e32 v102, v116
	v_mul_f32_e32 v117, 0x3f7e222b, v56
	v_fmac_f32_e32 v102, 0xbf3f9e67, v5
	v_mov_b32_e32 v103, v117
	v_add_f32_e32 v102, v1, v102
	v_fmac_f32_e32 v103, 0x3df6dbef, v6
	v_mul_f32_e32 v118, 0xbf52af12, v57
	v_add_f32_e32 v102, v103, v102
	v_mov_b32_e32 v103, v118
	v_fmac_f32_e32 v103, 0x3f116cb1, v7
	v_mul_f32_e32 v119, 0x3e750f2a, v66
	v_add_f32_e32 v102, v103, v102
	v_mov_b32_e32 v103, v119
	;; [unrolled: 4-line block ×3, first 2 shown]
	v_fmac_f32_e32 v103, 0x3f62ad3f, v27
	v_mul_f32_e32 v121, 0xbf29c268, v51
	v_add_f32_e32 v102, v103, v102
	v_fma_f32 v103, v2, s11, -v121
	v_mul_f32_e32 v122, 0x3f7e222b, v53
	v_add_f32_e32 v103, v0, v103
	v_fma_f32 v123, v3, s16, -v122
	v_add_f32_e32 v103, v123, v103
	v_mul_f32_e32 v123, 0xbf52af12, v52
	v_fma_f32 v124, v4, s6, -v123
	v_add_f32_e32 v103, v124, v103
	v_mul_f32_e32 v124, 0x3e750f2a, v58
	;; [unrolled: 3-line block ×3, first 2 shown]
	v_fma_f32 v126, v19, s17, -v125
	v_mul_f32_e32 v127, 0xbf6f5d39, v72
	v_add_f32_e32 v126, v126, v103
	v_mov_b32_e32 v103, v127
	v_fmac_f32_e32 v103, 0xbeb58ec6, v54
	v_mul_f32_e32 v128, 0xbf6f5d39, v68
	v_add_f32_e32 v103, v103, v102
	v_fma_f32 v102, v50, s7, -v128
	v_add_f32_e32 v102, v102, v126
	v_mul_f32_e32 v126, 0xbeb58ec6, v5
	v_add_f32_e32 v94, v94, v126
	v_mul_f32_e32 v126, 0xbf3f9e67, v6
	v_add_f32_e32 v95, v95, v126
	v_add_f32_e32 v94, v1, v94
	;; [unrolled: 1-line block ×3, first 2 shown]
	v_mul_f32_e32 v95, 0x3f62ad3f, v7
	v_add_f32_e32 v95, v96, v95
	v_mul_f32_e32 v96, 0xbeb58ec6, v2
	v_sub_f32_e32 v88, v96, v88
	v_mul_f32_e32 v96, 0xbf3f9e67, v3
	v_sub_f32_e32 v89, v96, v89
	v_add_f32_e32 v88, v0, v88
	v_add_f32_e32 v88, v89, v88
	v_mul_f32_e32 v89, 0x3f62ad3f, v4
	v_sub_f32_e32 v89, v89, v90
	v_add_f32_e32 v88, v89, v88
	v_mul_f32_e32 v89, 0x3df6dbef, v8
	v_sub_f32_e32 v89, v89, v91
	;; [unrolled: 3-line block ×3, first 2 shown]
	v_mul_f32_e32 v92, 0x3df6dbef, v5
	v_add_f32_e32 v84, v84, v92
	v_mul_f32_e32 v92, 0xbf788fa5, v6
	v_add_f32_e32 v82, v82, v92
	v_add_f32_e32 v84, v1, v84
	v_add_f32_e32 v45, v1, v45
	v_add_f32_e32 v82, v82, v84
	v_mul_f32_e32 v84, 0xbeb58ec6, v7
	v_add_f32_e32 v44, v45, v44
	v_add_f32_e32 v83, v83, v84
	v_add_f32_e32 v40, v44, v40
	;; [unrolled: 5-line block ×3, first 2 shown]
	v_mul_f32_e32 v92, 0x3df6dbef, v2
	v_add_f32_e32 v82, v83, v82
	v_mul_f32_e32 v83, 0x3f116cb1, v27
	v_add_f32_e32 v34, v34, v35
	;; [unrolled: 2-line block ×3, first 2 shown]
	v_mul_f32_e32 v86, 0xbf788fa5, v3
	v_sub_f32_e32 v76, v92, v76
	v_add_f32_e32 v34, v34, v36
	v_mul_f32_e32 v84, 0xbeb58ec6, v3
	v_add_f32_e32 v82, v83, v82
	v_mul_f32_e32 v83, 0xbf3f9e67, v54
	v_sub_f32_e32 v77, v86, v77
	v_mul_f32_e32 v86, 0xbeb58ec6, v4
	v_add_f32_e32 v76, v0, v76
	v_sub_f32_e32 v59, v91, v59
	v_add_f32_e32 v34, v34, v37
	v_add_f32_e32 v88, v89, v88
	v_mul_f32_e32 v89, 0x3f116cb1, v50
	v_add_f32_e32 v83, v87, v83
	v_mul_f32_e32 v87, 0xbf788fa5, v4
	v_add_f32_e32 v76, v77, v76
	v_sub_f32_e32 v77, v86, v78
	v_add_f32_e32 v59, v0, v59
	v_sub_f32_e32 v61, v84, v61
	v_add_f32_e32 v34, v34, v38
	v_sub_f32_e32 v90, v89, v93
	v_mul_f32_e32 v93, 0xbf3f9e67, v8
	v_add_f32_e32 v76, v77, v76
	v_mul_f32_e32 v77, 0x3f62ad3f, v8
	v_add_f32_e32 v59, v61, v59
	v_sub_f32_e32 v60, v87, v60
	v_add_f32_e32 v34, v34, v39
	v_sub_f32_e32 v77, v77, v79
	v_mul_f32_e32 v79, 0x3df6dbef, v19
	v_add_f32_e32 v59, v60, v59
	v_sub_f32_e32 v60, v93, v67
	v_add_f32_e32 v34, v34, v42
	v_add_f32_e32 v88, v90, v88
	v_mul_f32_e32 v90, 0x3f116cb1, v5
	v_mul_f32_e32 v86, 0x3f62ad3f, v50
	v_add_f32_e32 v59, v60, v59
	v_sub_f32_e32 v60, v79, v71
	v_add_f32_e32 v35, v34, v43
	v_add_f32_e32 v34, v0, v49
	v_mul_f32_e32 v85, 0xbeb58ec6, v6
	v_add_f32_e32 v76, v77, v76
	v_mul_f32_e32 v77, 0x3f116cb1, v19
	v_add_f32_e32 v63, v63, v90
	v_add_f32_e32 v59, v60, v59
	v_sub_f32_e32 v60, v86, v74
	v_add_f32_e32 v34, v34, v48
	v_mul_f32_e32 v92, 0xbf788fa5, v7
	v_sub_f32_e32 v77, v77, v80
	v_add_f32_e32 v63, v1, v63
	v_add_f32_e32 v62, v62, v85
	;; [unrolled: 1-line block ×3, first 2 shown]
	v_mul_f32_e32 v59, 0xbeedf032, v55
	v_add_f32_e32 v23, v34, v23
	v_mul_f32_e32 v78, 0xbf3f9e67, v18
	v_add_f32_e32 v76, v77, v76
	;; [unrolled: 2-line block ×3, first 2 shown]
	v_add_f32_e32 v63, v64, v92
	v_mov_b32_e32 v55, v59
	v_mul_f32_e32 v60, 0xbf52af12, v56
	v_add_f32_e32 v23, v23, v46
	v_mul_f32_e32 v80, 0x3df6dbef, v27
	v_sub_f32_e32 v81, v77, v81
	v_add_f32_e32 v62, v63, v62
	v_add_f32_e32 v63, v70, v78
	v_fmac_f32_e32 v55, 0x3f62ad3f, v5
	v_mov_b32_e32 v56, v60
	v_add_f32_e32 v10, v23, v10
	v_add_f32_e32 v76, v81, v76
	v_mul_f32_e32 v81, 0x3f62ad3f, v54
	v_add_f32_e32 v62, v63, v62
	v_add_f32_e32 v63, v73, v80
	;; [unrolled: 1-line block ×3, first 2 shown]
	v_fmac_f32_e32 v56, 0x3f116cb1, v6
	v_mul_f32_e32 v57, 0xbf7e222b, v57
	v_add_f32_e32 v10, v10, v11
	v_add_f32_e32 v62, v63, v62
	;; [unrolled: 1-line block ×4, first 2 shown]
	v_mov_b32_e32 v56, v57
	v_add_f32_e32 v10, v10, v20
	v_add_f32_e32 v62, v63, v62
	v_fmac_f32_e32 v56, 0x3df6dbef, v7
	v_mul_f32_e32 v63, 0xbf6f5d39, v66
	v_add_f32_e32 v10, v10, v21
	v_add_f32_e32 v55, v56, v55
	v_mov_b32_e32 v56, v63
	v_add_f32_e32 v9, v10, v9
	v_fmac_f32_e32 v56, 0xbeb58ec6, v18
	v_mul_f32_e32 v64, 0xbf29c268, v69
	v_add_f32_e32 v9, v9, v22
	v_add_f32_e32 v55, v56, v55
	v_mov_b32_e32 v56, v64
	v_add_f32_e32 v9, v9, v47
	v_fmac_f32_e32 v56, 0xbf3f9e67, v27
	v_mul_f32_e32 v66, 0xbe750f2a, v72
	v_add_f32_e32 v34, v9, v26
	v_fma_f32 v9, v5, s10, -v104
	v_fma_f32 v11, v5, s11, -v116
	v_add_f32_e32 v55, v56, v55
	v_mov_b32_e32 v56, v66
	v_add_f32_e32 v9, v1, v9
	v_fma_f32 v10, v6, s17, -v105
	v_add_f32_e32 v11, v1, v11
	v_fma_f32 v20, v6, s16, -v117
	v_fmac_f32_e32 v56, 0xbf788fa5, v54
	v_mul_f32_e32 v51, 0xbeedf032, v51
	v_add_f32_e32 v9, v10, v9
	v_fma_f32 v10, v7, s11, -v106
	v_add_f32_e32 v11, v20, v11
	v_fma_f32 v20, v7, s6, -v118
	;; [unrolled: 2-line block ×3, first 2 shown]
	v_mul_f32_e32 v53, 0xbf52af12, v53
	v_add_f32_e32 v9, v10, v9
	v_fma_f32 v10, v18, s6, -v107
	v_add_f32_e32 v11, v20, v11
	v_fma_f32 v20, v18, s10, -v119
	;; [unrolled: 2-line block ×3, first 2 shown]
	v_mul_f32_e32 v52, 0xbf7e222b, v52
	v_add_f32_e32 v9, v10, v9
	v_fma_f32 v10, v27, s7, -v108
	v_add_f32_e32 v11, v20, v11
	v_fma_f32 v20, v27, s17, -v120
	v_add_f32_e32 v94, v95, v94
	v_mul_f32_e32 v95, 0x3df6dbef, v18
	v_add_f32_e32 v55, v67, v55
	v_fma_f32 v67, v4, s16, -v52
	v_mul_f32_e32 v58, 0xbf6f5d39, v58
	v_add_f32_e32 v9, v10, v9
	v_fma_f32 v10, v54, s16, -v109
	v_fmac_f32_e32 v110, 0xbf788fa5, v2
	v_add_f32_e32 v11, v20, v11
	v_fma_f32 v20, v54, s7, -v127
	v_fmac_f32_e32 v121, 0xbf3f9e67, v2
	v_fma_f32 v5, v5, s17, -v59
	v_fmac_f32_e32 v51, 0x3f62ad3f, v2
	v_add_f32_e32 v95, v97, v95
	v_add_f32_e32 v55, v67, v55
	v_fma_f32 v67, v8, s7, -v58
	v_mul_f32_e32 v65, 0xbf29c268, v65
	v_add_f32_e32 v10, v10, v9
	v_add_f32_e32 v9, v0, v110
	v_fmac_f32_e32 v111, 0x3f62ad3f, v3
	v_add_f32_e32 v21, v20, v11
	v_add_f32_e32 v11, v0, v121
	v_fmac_f32_e32 v122, 0x3df6dbef, v3
	v_add_f32_e32 v1, v1, v5
	v_fma_f32 v5, v6, s6, -v60
	v_add_f32_e32 v0, v0, v51
	v_fmac_f32_e32 v53, 0x3f116cb1, v3
	v_add_f32_e32 v94, v95, v94
	v_mul_f32_e32 v95, 0xbf788fa5, v27
	v_add_f32_e32 v55, v67, v55
	v_fma_f32 v67, v19, s11, -v65
	v_add_f32_e32 v9, v111, v9
	v_fmac_f32_e32 v112, 0xbf3f9e67, v4
	v_add_f32_e32 v11, v122, v11
	v_fmac_f32_e32 v123, 0x3f116cb1, v4
	v_add_f32_e32 v1, v5, v1
	v_fma_f32 v5, v7, s16, -v57
	v_add_f32_e32 v0, v53, v0
	v_fmac_f32_e32 v52, 0x3df6dbef, v4
	v_add_f32_e32 v95, v98, v95
	v_add_f32_e32 v55, v67, v55
	v_mul_f32_e32 v67, 0xbe750f2a, v68
	v_add_f32_e32 v9, v112, v9
	v_fmac_f32_e32 v113, 0x3f116cb1, v8
	v_add_f32_e32 v11, v123, v11
	v_fmac_f32_e32 v124, 0xbf788fa5, v8
	v_add_f32_e32 v1, v5, v1
	v_fma_f32 v5, v18, s7, -v63
	v_add_f32_e32 v0, v52, v0
	v_fmac_f32_e32 v58, 0xbeb58ec6, v8
	v_mov_b32_e32 v3, 3
	v_add_f32_e32 v94, v95, v94
	v_mul_f32_e32 v95, 0x3f116cb1, v54
	v_fma_f32 v68, v50, s10, -v67
	v_add_f32_e32 v9, v113, v9
	v_fmac_f32_e32 v114, 0xbeb58ec6, v19
	v_add_f32_e32 v11, v124, v11
	v_fmac_f32_e32 v125, 0x3f62ad3f, v19
	v_add_f32_e32 v1, v5, v1
	v_fma_f32 v5, v27, s11, -v64
	v_add_f32_e32 v0, v58, v0
	v_fmac_f32_e32 v65, 0xbf3f9e67, v19
	v_mul_u32_u24_e32 v2, 0x138, v32
	v_lshlrev_b32_sdwa v3, v3, v33 dst_sel:DWORD dst_unused:UNUSED_PAD src0_sel:DWORD src1_sel:BYTE_0
	v_add_f32_e32 v95, v99, v95
	v_add_f32_e32 v55, v68, v55
	;; [unrolled: 1-line block ×3, first 2 shown]
	v_fmac_f32_e32 v115, 0x3df6dbef, v50
	v_add_f32_e32 v11, v125, v11
	v_fmac_f32_e32 v128, 0xbeb58ec6, v50
	v_add_f32_e32 v1, v5, v1
	v_fma_f32 v5, v54, s10, -v66
	v_add_f32_e32 v0, v65, v0
	v_fmac_f32_e32 v67, 0xbf788fa5, v50
	v_add3_u32 v2, 0, v2, v3
	v_add_f32_e32 v89, v95, v94
	v_add_f32_e32 v77, v83, v82
	;; [unrolled: 1-line block ×6, first 2 shown]
	ds_write2_b64 v2, v[34:35], v[55:56] offset1:3
	ds_write2_b64 v2, v[61:62], v[76:77] offset0:6 offset1:9
	ds_write2_b64 v2, v[88:89], v[102:103] offset0:12 offset1:15
	;; [unrolled: 1-line block ×5, first 2 shown]
	ds_write_b64 v2, v[0:1] offset:288
.LBB0_21:
	s_or_b64 exec, exec, s[4:5]
	v_lshl_add_u32 v26, v29, 3, 0
	v_add_u32_e32 v0, 0xc00, v26
	v_add_u32_e32 v4, 0x1400, v26
	;; [unrolled: 1-line block ×3, first 2 shown]
	s_waitcnt lgkmcnt(0)
	s_barrier
	ds_read2_b64 v[0:3], v0 offset0:45 offset1:162
	ds_read2_b64 v[4:7], v4 offset0:23 offset1:218
	v_lshl_add_u32 v27, v30, 3, 0
	ds_read2_b64 v[8:11], v8 offset0:79 offset1:196
	v_lshl_add_u32 v32, v31, 3, 0
	ds_read_b64 v[22:23], v26
	ds_read_b64 v[20:21], v27
	;; [unrolled: 1-line block ×3, first 2 shown]
	s_and_saveexec_b64 s[2:3], s[0:1]
	s_cbranch_execz .LBB0_23
; %bb.22:
	ds_read_b64 v[16:17], v26 offset:2808
	ds_read_b64 v[14:15], v26 offset:6240
	;; [unrolled: 1-line block ×3, first 2 shown]
.LBB0_23:
	s_or_b64 exec, exec, s[2:3]
	s_movk_i32 s2, 0xa5
	v_mul_lo_u16_sdwa v33, v29, s2 dst_sel:DWORD dst_unused:UNUSED_PAD src0_sel:BYTE_0 src1_sel:DWORD
	v_sub_u16_sdwa v34, v29, v33 dst_sel:DWORD dst_unused:UNUSED_PAD src0_sel:DWORD src1_sel:BYTE_1
	v_lshrrev_b16_e32 v34, 1, v34
	v_and_b32_e32 v34, 0x7f, v34
	v_add_u16_sdwa v33, v34, v33 dst_sel:DWORD dst_unused:UNUSED_PAD src0_sel:DWORD src1_sel:BYTE_1
	v_lshrrev_b16_e32 v33, 5, v33
	v_and_b32_e32 v45, 7, v33
	v_mul_lo_u16_e32 v33, 39, v45
	s_mov_b32 s4, 0xa41b
	v_mul_lo_u16_sdwa v38, v30, s2 dst_sel:DWORD dst_unused:UNUSED_PAD src0_sel:BYTE_0 src1_sel:DWORD
	v_sub_u16_e32 v46, v29, v33
	v_mul_u32_u24_sdwa v33, v31, s4 dst_sel:DWORD dst_unused:UNUSED_PAD src0_sel:WORD_0 src1_sel:DWORD
	v_sub_u16_sdwa v39, v30, v38 dst_sel:DWORD dst_unused:UNUSED_PAD src0_sel:DWORD src1_sel:BYTE_1
	v_sub_u16_sdwa v34, v31, v33 dst_sel:DWORD dst_unused:UNUSED_PAD src0_sel:DWORD src1_sel:WORD_1
	v_lshrrev_b16_e32 v39, 1, v39
	v_lshrrev_b16_e32 v34, 1, v34
	v_and_b32_e32 v39, 0x7f, v39
	v_add_u16_sdwa v33, v34, v33 dst_sel:DWORD dst_unused:UNUSED_PAD src0_sel:DWORD src1_sel:WORD_1
	v_add_u16_sdwa v38, v39, v38 dst_sel:DWORD dst_unused:UNUSED_PAD src0_sel:DWORD src1_sel:BYTE_1
	v_lshrrev_b16_e32 v47, 5, v33
	v_lshrrev_b16_e32 v38, 5, v38
	v_mul_lo_u16_e32 v33, 39, v47
	v_and_b32_e32 v48, 7, v38
	v_sub_u16_e32 v31, v31, v33
	v_mul_lo_u16_e32 v42, 39, v48
	v_mov_b32_e32 v41, 4
	v_lshlrev_b32_e32 v33, 4, v31
	v_sub_u16_e32 v30, v30, v42
	v_lshlrev_b32_sdwa v37, v41, v46 dst_sel:DWORD dst_unused:UNUSED_PAD src0_sel:DWORD src1_sel:BYTE_0
	global_load_dwordx4 v[33:36], v33, s[8:9] offset:288
	v_lshlrev_b32_sdwa v41, v41, v30 dst_sel:DWORD dst_unused:UNUSED_PAD src0_sel:DWORD src1_sel:BYTE_0
	global_load_dwordx4 v[37:40], v37, s[8:9] offset:288
	s_movk_i32 s2, 0x3a8
	global_load_dwordx4 v[41:44], v41, s[8:9] offset:288
	s_waitcnt vmcnt(0) lgkmcnt(0)
	s_barrier
	v_mul_f32_e32 v49, v34, v5
	v_mul_f32_e32 v34, v34, v4
	;; [unrolled: 1-line block ×4, first 2 shown]
	v_fma_f32 v49, v33, v4, -v49
	v_fmac_f32_e32 v34, v33, v5
	v_fma_f32 v33, v35, v10, -v50
	v_fmac_f32_e32 v36, v35, v11
	v_mul_f32_e32 v4, v38, v1
	v_mul_f32_e32 v35, v42, v3
	;; [unrolled: 1-line block ×7, first 2 shown]
	v_fma_f32 v4, v37, v0, -v4
	v_fma_f32 v2, v41, v2, -v35
	v_mul_f32_e32 v42, v44, v8
	v_fmac_f32_e32 v5, v37, v1
	v_fma_f32 v1, v39, v6, -v10
	v_fmac_f32_e32 v38, v41, v3
	v_fma_f32 v3, v43, v8, -v40
	v_add_f32_e32 v6, v22, v4
	v_add_f32_e32 v10, v20, v2
	v_fmac_f32_e32 v11, v39, v7
	v_fmac_f32_e32 v42, v43, v9
	v_add_f32_e32 v7, v4, v1
	v_sub_f32_e32 v37, v4, v1
	v_add_f32_e32 v39, v2, v3
	v_sub_f32_e32 v43, v2, v3
	v_add_f32_e32 v4, v6, v1
	v_add_f32_e32 v6, v10, v3
	;; [unrolled: 1-line block ×6, first 2 shown]
	v_fma_f32 v22, -0.5, v7, v22
	v_add_f32_e32 v1, v19, v34
	v_fmac_f32_e32 v19, -0.5, v3
	v_add_f32_e32 v50, v49, v33
	v_sub_f32_e32 v51, v34, v36
	v_add_f32_e32 v0, v44, v33
	v_sub_f32_e32 v35, v5, v11
	v_add_f32_e32 v5, v8, v11
	v_fmac_f32_e32 v23, -0.5, v9
	v_mov_b32_e32 v8, v22
	v_sub_f32_e32 v33, v49, v33
	v_mov_b32_e32 v3, v19
	v_mov_b32_e32 v34, 3
	v_sub_f32_e32 v40, v38, v42
	v_add_f32_e32 v41, v21, v38
	v_add_f32_e32 v38, v38, v42
	v_fmac_f32_e32 v22, 0xbf5db3d7, v35
	v_mov_b32_e32 v9, v23
	v_fmac_f32_e32 v8, 0x3f5db3d7, v35
	v_fmac_f32_e32 v3, 0xbf5db3d7, v33
	;; [unrolled: 1-line block ×3, first 2 shown]
	v_mul_u32_u24_sdwa v33, v45, s2 dst_sel:DWORD dst_unused:UNUSED_PAD src0_sel:WORD_0 src1_sel:DWORD
	v_lshlrev_b32_sdwa v35, v34, v46 dst_sel:DWORD dst_unused:UNUSED_PAD src0_sel:DWORD src1_sel:BYTE_0
	v_fma_f32 v20, -0.5, v39, v20
	v_fmac_f32_e32 v21, -0.5, v38
	v_fmac_f32_e32 v9, 0xbf5db3d7, v37
	v_add3_u32 v33, 0, v33, v35
	v_fmac_f32_e32 v23, 0x3f5db3d7, v37
	v_mov_b32_e32 v10, v20
	v_mov_b32_e32 v11, v21
	ds_write2_b64 v33, v[4:5], v[8:9] offset1:39
	ds_write_b64 v33, v[22:23] offset:624
	v_mul_u32_u24_sdwa v4, v48, s2 dst_sel:DWORD dst_unused:UNUSED_PAD src0_sel:WORD_0 src1_sel:DWORD
	v_lshlrev_b32_sdwa v5, v34, v30 dst_sel:DWORD dst_unused:UNUSED_PAD src0_sel:DWORD src1_sel:BYTE_0
	v_fma_f32 v18, -0.5, v50, v18
	v_add_f32_e32 v7, v41, v42
	v_fmac_f32_e32 v10, 0x3f5db3d7, v40
	v_fmac_f32_e32 v11, 0xbf5db3d7, v43
	v_add3_u32 v4, 0, v4, v5
	v_mov_b32_e32 v2, v18
	v_fmac_f32_e32 v20, 0xbf5db3d7, v40
	v_fmac_f32_e32 v21, 0x3f5db3d7, v43
	ds_write2_b64 v4, v[6:7], v[10:11] offset1:39
	ds_write_b64 v4, v[20:21] offset:624
	v_mul_u32_u24_e32 v4, 0x3a8, v47
	v_lshlrev_b32_e32 v5, 3, v31
	v_fmac_f32_e32 v2, 0x3f5db3d7, v51
	v_add_f32_e32 v1, v1, v36
	v_add3_u32 v4, 0, v4, v5
	v_fmac_f32_e32 v18, 0xbf5db3d7, v51
	ds_write2_b64 v4, v[0:1], v[2:3] offset1:39
	ds_write_b64 v4, v[18:19] offset:624
	s_and_saveexec_b64 s[2:3], s[0:1]
	s_cbranch_execz .LBB0_25
; %bb.24:
	v_add_u32_e32 v0, 0x15f, v29
	v_mul_u32_u24_sdwa v1, v0, s4 dst_sel:DWORD dst_unused:UNUSED_PAD src0_sel:WORD_0 src1_sel:DWORD
	v_sub_u16_sdwa v2, v0, v1 dst_sel:DWORD dst_unused:UNUSED_PAD src0_sel:DWORD src1_sel:WORD_1
	v_lshrrev_b16_e32 v2, 1, v2
	v_add_u16_sdwa v1, v2, v1 dst_sel:DWORD dst_unused:UNUSED_PAD src0_sel:DWORD src1_sel:WORD_1
	v_lshrrev_b16_e32 v4, 5, v1
	v_mul_lo_u16_e32 v1, 39, v4
	v_sub_u16_e32 v5, v0, v1
	v_lshlrev_b32_e32 v0, 4, v5
	global_load_dwordx4 v[0:3], v0, s[8:9] offset:288
	v_mul_lo_u16_e32 v4, 0x75, v4
	v_lshlrev_b32_e32 v4, 3, v4
	v_lshlrev_b32_e32 v5, 3, v5
	v_add3_u32 v6, 0, v5, v4
	s_waitcnt vmcnt(0)
	v_mul_f32_e32 v4, v15, v1
	v_mul_f32_e32 v5, v13, v3
	;; [unrolled: 1-line block ×4, first 2 shown]
	v_fma_f32 v4, v14, v0, -v4
	v_fma_f32 v5, v12, v2, -v5
	v_fmac_f32_e32 v1, v15, v0
	v_fmac_f32_e32 v3, v13, v2
	v_add_f32_e32 v0, v1, v3
	v_add_f32_e32 v8, v4, v5
	v_sub_f32_e32 v7, v4, v5
	v_add_f32_e32 v2, v17, v1
	v_sub_f32_e32 v9, v1, v3
	v_add_f32_e32 v4, v16, v4
	v_fma_f32 v1, -0.5, v0, v17
	v_fma_f32 v0, -0.5, v8, v16
	v_add_f32_e32 v3, v2, v3
	v_add_f32_e32 v2, v4, v5
	v_mov_b32_e32 v5, v1
	v_fmac_f32_e32 v1, 0xbf5db3d7, v7
	v_mov_b32_e32 v4, v0
	v_fmac_f32_e32 v0, 0x3f5db3d7, v9
	v_fmac_f32_e32 v5, 0x3f5db3d7, v7
	;; [unrolled: 1-line block ×3, first 2 shown]
	ds_write2_b64 v6, v[2:3], v[0:1] offset1:39
	ds_write_b64 v6, v[4:5] offset:624
.LBB0_25:
	s_or_b64 exec, exec, s[2:3]
	s_waitcnt lgkmcnt(0)
	s_barrier
	s_and_saveexec_b64 s[0:1], vcc
	s_cbranch_execz .LBB0_27
; %bb.26:
	v_mul_u32_u24_e32 v0, 10, v29
	v_lshlrev_b32_e32 v20, 3, v0
	global_load_dwordx4 v[0:3], v20, s[8:9] offset:976
	global_load_dwordx4 v[4:7], v20, s[8:9] offset:912
	;; [unrolled: 1-line block ×5, first 2 shown]
	v_add_u32_e32 v20, 0x2000, v26
	ds_read_b64 v[41:42], v32
	ds_read_b64 v[43:44], v27
	ds_read_b64 v[45:46], v26
	ds_read2_b64 v[20:23], v20 offset0:29 offset1:146
	v_add_u32_e32 v27, 0x1800, v26
	v_add_u32_e32 v33, 0x800, v26
	;; [unrolled: 1-line block ×3, first 2 shown]
	ds_read2_b64 v[29:32], v27 offset0:51 offset1:168
	ds_read2_b64 v[33:36], v33 offset0:95 offset1:212
	;; [unrolled: 1-line block ×3, first 2 shown]
	s_mov_b32 s0, 0xbf75a155
	s_mov_b32 s1, 0x3f575c64
	;; [unrolled: 1-line block ×5, first 2 shown]
	s_waitcnt vmcnt(4) lgkmcnt(3)
	v_mul_f32_e32 v26, v2, v23
	s_waitcnt vmcnt(3)
	v_mul_f32_e32 v27, v4, v44
	v_mul_f32_e32 v47, v0, v21
	v_mul_f32_e32 v48, v6, v42
	s_waitcnt vmcnt(2) lgkmcnt(2)
	v_mul_f32_e32 v51, v8, v30
	s_waitcnt vmcnt(1) lgkmcnt(1)
	v_mul_f32_e32 v52, v14, v36
	v_mul_f32_e32 v30, v9, v30
	v_fmac_f32_e32 v26, v3, v22
	v_fmac_f32_e32 v27, v5, v43
	v_mul_f32_e32 v44, v5, v44
	v_mul_f32_e32 v23, v3, v23
	;; [unrolled: 1-line block ×5, first 2 shown]
	v_fmac_f32_e32 v47, v1, v20
	v_fmac_f32_e32 v48, v7, v41
	;; [unrolled: 1-line block ×4, first 2 shown]
	v_fma_f32 v15, v29, v8, -v30
	v_add_f32_e32 v29, v26, v27
	v_mul_f32_e32 v42, v7, v42
	v_mul_f32_e32 v21, v1, v21
	;; [unrolled: 1-line block ×3, first 2 shown]
	v_fma_f32 v43, v4, v43, -v44
	v_fma_f32 v22, v22, v2, -v23
	v_fmac_f32_e32 v49, v11, v31
	v_fmac_f32_e32 v50, v13, v33
	v_add_f32_e32 v30, v47, v48
	v_mul_f32_e32 v2, 0xbf75a155, v29
	v_mul_f32_e32 v34, v13, v34
	s_waitcnt vmcnt(0) lgkmcnt(0)
	v_mul_f32_e32 v53, v18, v40
	v_mul_f32_e32 v54, v16, v38
	v_fma_f32 v23, v6, v41, -v42
	v_fma_f32 v20, v20, v0, -v21
	;; [unrolled: 1-line block ×3, first 2 shown]
	v_sub_f32_e32 v10, v43, v22
	v_add_f32_e32 v31, v49, v50
	v_mul_f32_e32 v3, 0x3f575c64, v30
	v_mov_b32_e32 v0, v2
	v_fma_f32 v12, v12, v33, -v34
	v_fmac_f32_e32 v53, v19, v39
	v_fmac_f32_e32 v54, v17, v37
	v_sub_f32_e32 v11, v23, v20
	v_add_f32_e32 v32, v51, v52
	v_mul_f32_e32 v4, 0xbf27a4f4, v31
	v_mov_b32_e32 v1, v3
	v_fmac_f32_e32 v0, 0x3e903f40, v10
	v_mul_f32_e32 v38, v17, v38
	v_mul_f32_e32 v40, v19, v40
	v_fma_f32 v14, v14, v35, -v36
	v_sub_f32_e32 v13, v12, v21
	v_add_f32_e32 v33, v53, v54
	v_mul_f32_e32 v5, 0x3ed4b147, v32
	v_mov_b32_e32 v7, v4
	v_fmac_f32_e32 v1, 0xbf0a6770, v11
	v_add_f32_e32 v0, v0, v46
	v_fma_f32 v16, v16, v37, -v38
	v_fma_f32 v17, v39, v18, -v40
	v_sub_f32_e32 v18, v14, v15
	v_mul_f32_e32 v6, 0xbe11bafb, v33
	v_mov_b32_e32 v8, v5
	v_fmac_f32_e32 v7, 0x3f4178ce, v13
	v_add_f32_e32 v0, v0, v1
	v_sub_f32_e32 v19, v16, v17
	v_mov_b32_e32 v9, v6
	v_fmac_f32_e32 v8, 0xbf68dda4, v18
	v_add_f32_e32 v0, v0, v7
	v_sub_f32_e32 v35, v27, v26
	v_fmac_f32_e32 v9, 0x3f7d64f0, v19
	v_add_f32_e32 v0, v0, v8
	v_mul_f32_e32 v7, 0xbe903f40, v35
	v_sub_f32_e32 v37, v48, v47
	v_add_f32_e32 v1, v0, v9
	v_add_f32_e32 v34, v22, v43
	v_mov_b32_e32 v0, v7
	v_mul_f32_e32 v8, 0x3f0a6770, v37
	v_fmac_f32_e32 v2, 0xbe903f40, v10
	v_fmac_f32_e32 v0, 0xbf75a155, v34
	v_add_f32_e32 v36, v20, v23
	v_mov_b32_e32 v9, v8
	v_add_f32_e32 v2, v2, v46
	v_fmac_f32_e32 v3, 0x3f0a6770, v11
	v_add_f32_e32 v0, v0, v45
	v_fmac_f32_e32 v9, 0x3f575c64, v36
	v_sub_f32_e32 v39, v50, v49
	v_add_f32_e32 v2, v2, v3
	v_fmac_f32_e32 v4, 0xbf4178ce, v13
	v_add_f32_e32 v0, v0, v9
	v_mul_f32_e32 v9, 0xbf4178ce, v39
	v_add_f32_e32 v2, v2, v4
	v_fmac_f32_e32 v5, 0x3f68dda4, v18
	v_add_f32_e32 v38, v21, v12
	v_mov_b32_e32 v40, v9
	v_sub_f32_e32 v41, v52, v51
	v_add_f32_e32 v2, v2, v5
	v_fmac_f32_e32 v6, 0xbf7d64f0, v19
	v_fmac_f32_e32 v40, 0xbf27a4f4, v38
	v_mul_f32_e32 v42, 0x3f68dda4, v41
	v_add_f32_e32 v3, v2, v6
	v_fma_f32 v2, v34, s0, -v7
	v_add_f32_e32 v0, v0, v40
	v_add_f32_e32 v40, v15, v14
	v_mov_b32_e32 v44, v42
	v_add_f32_e32 v2, v2, v45
	v_fma_f32 v4, v36, s1, -v8
	v_fmac_f32_e32 v44, 0x3ed4b147, v40
	v_sub_f32_e32 v55, v54, v53
	v_add_f32_e32 v2, v2, v4
	v_fma_f32 v4, v38, s2, -v9
	v_add_f32_e32 v0, v0, v44
	v_add_f32_e32 v44, v17, v16
	v_mul_f32_e32 v56, 0xbf7d64f0, v55
	v_add_f32_e32 v2, v2, v4
	v_fma_f32 v4, v40, s3, -v42
	v_add_f32_e32 v2, v2, v4
	v_fma_f32 v4, v44, s4, -v56
	v_mul_f32_e32 v42, 0xbf4178ce, v10
	v_mov_b32_e32 v57, v56
	v_add_f32_e32 v2, v2, v4
	v_mov_b32_e32 v4, v42
	v_mul_f32_e32 v56, 0x3f7d64f0, v11
	v_fmac_f32_e32 v57, 0xbe11bafb, v44
	v_fmac_f32_e32 v4, 0xbf27a4f4, v29
	v_mov_b32_e32 v5, v56
	v_add_f32_e32 v0, v0, v57
	v_add_f32_e32 v4, v4, v46
	v_fmac_f32_e32 v5, 0xbe11bafb, v30
	v_mul_f32_e32 v57, 0xbf0a6770, v13
	v_add_f32_e32 v4, v4, v5
	v_mov_b32_e32 v5, v57
	v_fmac_f32_e32 v5, 0x3f575c64, v31
	v_mul_f32_e32 v58, 0xbe903f40, v18
	v_add_f32_e32 v4, v4, v5
	v_mov_b32_e32 v5, v58
	;; [unrolled: 4-line block ×3, first 2 shown]
	v_fmac_f32_e32 v5, 0x3ed4b147, v33
	v_mul_f32_e32 v60, 0xbf4178ce, v35
	v_add_f32_e32 v5, v4, v5
	v_fma_f32 v4, v34, s2, -v60
	v_mul_f32_e32 v61, 0x3f7d64f0, v37
	v_add_f32_e32 v4, v4, v45
	v_fma_f32 v6, v36, s4, -v61
	;; [unrolled: 3-line block ×5, first 2 shown]
	v_mul_f32_e32 v65, 0xbf7d64f0, v10
	v_add_f32_e32 v4, v4, v6
	v_mov_b32_e32 v6, v65
	v_mul_f32_e32 v66, 0x3e903f40, v11
	v_fmac_f32_e32 v6, 0xbe11bafb, v29
	v_mov_b32_e32 v7, v66
	v_add_f32_e32 v6, v6, v46
	v_fmac_f32_e32 v7, 0xbf75a155, v30
	v_mul_f32_e32 v67, 0x3f68dda4, v13
	v_add_f32_e32 v6, v6, v7
	v_mov_b32_e32 v7, v67
	v_fmac_f32_e32 v7, 0x3ed4b147, v31
	v_mul_f32_e32 v68, 0xbf0a6770, v18
	v_add_f32_e32 v6, v6, v7
	v_mov_b32_e32 v7, v68
	;; [unrolled: 4-line block ×3, first 2 shown]
	v_fmac_f32_e32 v7, 0xbf27a4f4, v33
	v_mul_f32_e32 v70, 0xbf7d64f0, v35
	v_add_f32_e32 v7, v6, v7
	v_fma_f32 v6, v34, s4, -v70
	v_mul_f32_e32 v71, 0x3e903f40, v37
	v_add_f32_e32 v6, v6, v45
	v_fma_f32 v8, v36, s0, -v71
	;; [unrolled: 3-line block ×5, first 2 shown]
	v_mul_f32_e32 v75, 0xbf68dda4, v10
	v_add_f32_e32 v6, v6, v8
	v_mov_b32_e32 v8, v75
	v_mul_f32_e32 v76, 0xbf4178ce, v11
	v_fmac_f32_e32 v8, 0x3ed4b147, v29
	v_mov_b32_e32 v9, v76
	v_add_f32_e32 v8, v8, v46
	v_fmac_f32_e32 v9, 0xbf27a4f4, v30
	v_mul_f32_e32 v77, 0x3e903f40, v13
	v_add_f32_e32 v8, v8, v9
	v_mov_b32_e32 v9, v77
	v_fmac_f32_e32 v9, 0xbf75a155, v31
	v_mul_f32_e32 v78, 0x3f7d64f0, v18
	v_add_f32_e32 v8, v8, v9
	v_mov_b32_e32 v9, v78
	v_fmac_f32_e32 v9, 0xbe11bafb, v32
	v_mul_f32_e32 v79, 0x3f0a6770, v19
	v_add_f32_e32 v8, v8, v9
	v_mov_b32_e32 v9, v79
	v_fmac_f32_e32 v9, 0x3f575c64, v33
	v_mul_f32_e32 v80, 0xbf68dda4, v35
	v_add_f32_e32 v9, v8, v9
	v_fma_f32 v8, v34, s3, -v80
	v_mul_f32_e32 v81, 0xbf4178ce, v37
	v_add_f32_e32 v8, v8, v45
	v_fma_f32 v82, v36, s2, -v81
	v_add_f32_e32 v8, v8, v82
	v_mul_f32_e32 v82, 0x3e903f40, v39
	v_fma_f32 v83, v38, s0, -v82
	v_add_f32_e32 v8, v8, v83
	v_mul_f32_e32 v83, 0x3f7d64f0, v41
	;; [unrolled: 3-line block ×4, first 2 shown]
	v_mov_b32_e32 v10, v85
	v_mul_f32_e32 v86, 0xbf68dda4, v11
	v_fmac_f32_e32 v10, 0x3f575c64, v29
	v_mov_b32_e32 v11, v86
	v_add_f32_e32 v10, v10, v46
	v_fmac_f32_e32 v11, 0x3ed4b147, v30
	v_mul_f32_e32 v87, 0xbf7d64f0, v13
	v_add_f32_e32 v10, v10, v11
	v_mov_b32_e32 v11, v87
	v_fmac_f32_e32 v11, 0xbe11bafb, v31
	v_mul_f32_e32 v88, 0xbf4178ce, v18
	v_add_f32_e32 v10, v10, v11
	v_mov_b32_e32 v11, v88
	v_fmac_f32_e32 v11, 0xbf27a4f4, v32
	v_mul_f32_e32 v89, 0xbe903f40, v19
	v_add_f32_e32 v18, v43, v45
	v_add_f32_e32 v10, v10, v11
	v_mov_b32_e32 v11, v89
	v_add_f32_e32 v18, v18, v23
	v_fmac_f32_e32 v11, 0xbf75a155, v33
	v_mul_f32_e32 v35, 0xbf0a6770, v35
	v_add_f32_e32 v12, v18, v12
	v_add_f32_e32 v11, v10, v11
	v_fma_f32 v10, v34, s1, -v35
	v_mul_f32_e32 v37, 0xbf68dda4, v37
	v_add_f32_e32 v12, v12, v14
	v_add_f32_e32 v10, v10, v45
	v_fma_f32 v13, v36, s3, -v37
	;; [unrolled: 4-line block ×5, first 2 shown]
	v_add_f32_e32 v12, v21, v12
	v_add_f32_e32 v10, v10, v13
	v_add_f32_e32 v13, v27, v46
	v_add_f32_e32 v12, v20, v12
	v_fma_f32 v18, v29, s3, -v75
	v_fma_f32 v20, v29, s1, -v85
	v_add_f32_e32 v13, v13, v48
	v_fma_f32 v14, v29, s2, -v42
	v_fma_f32 v16, v29, s4, -v65
	v_add_f32_e32 v18, v18, v46
	v_fma_f32 v19, v30, s2, -v76
	v_add_f32_e32 v20, v20, v46
	;; [unrolled: 2-line block ×3, first 2 shown]
	v_add_f32_e32 v14, v14, v46
	v_fma_f32 v15, v30, s4, -v56
	v_add_f32_e32 v16, v16, v46
	v_fma_f32 v17, v30, s0, -v66
	;; [unrolled: 2-line block ×4, first 2 shown]
	v_add_f32_e32 v13, v13, v52
	v_add_f32_e32 v14, v14, v15
	v_fma_f32 v15, v31, s1, -v57
	v_add_f32_e32 v16, v16, v17
	v_fma_f32 v17, v31, s3, -v67
	;; [unrolled: 2-line block ×4, first 2 shown]
	v_add_f32_e32 v13, v13, v54
	v_add_f32_e32 v12, v22, v12
	;; [unrolled: 1-line block ×3, first 2 shown]
	v_fma_f32 v15, v32, s0, -v58
	v_add_f32_e32 v16, v16, v17
	v_fma_f32 v17, v32, s1, -v68
	v_add_f32_e32 v18, v18, v19
	;; [unrolled: 2-line block ×3, first 2 shown]
	v_fma_f32 v21, v33, s0, -v89
	v_mad_u64_u32 v[22:23], s[0:1], s12, v28, 0
	v_add_f32_e32 v13, v53, v13
	v_fmac_f32_e32 v35, 0x3f575c64, v34
	v_add_f32_e32 v13, v51, v13
	v_add_f32_e32 v21, v20, v21
	v_add_f32_e32 v20, v35, v45
	v_fmac_f32_e32 v37, 0x3ed4b147, v36
	v_add_f32_e32 v13, v49, v13
	v_add_f32_e32 v20, v20, v37
	v_fmac_f32_e32 v39, 0xbe11bafb, v38
	v_add_f32_e32 v13, v47, v13
	v_add_f32_e32 v29, v20, v39
	v_mov_b32_e32 v20, v23
	v_add_f32_e32 v13, v26, v13
	v_mad_u64_u32 v[26:27], s[0:1], s13, v28, v[20:21]
	v_fmac_f32_e32 v41, 0xbf27a4f4, v40
	v_add_f32_e32 v20, v29, v41
	v_mov_b32_e32 v23, v26
	v_mov_b32_e32 v26, s15
	v_add_co_u32_e32 v29, vcc, s14, v24
	v_addc_co_u32_e32 v30, vcc, v26, v25, vcc
	v_add_u32_e32 v26, 0x75, v28
	v_mad_u64_u32 v[24:25], s[0:1], s12, v26, 0
	v_add_u32_e32 v31, 0xea, v28
	v_lshlrev_b64 v[22:23], 3, v[22:23]
	v_mad_u64_u32 v[25:26], s[0:1], s13, v26, v[25:26]
	v_mad_u64_u32 v[26:27], s[0:1], s12, v31, 0
	v_add_co_u32_e32 v22, vcc, v29, v22
	v_addc_co_u32_e32 v23, vcc, v30, v23, vcc
	global_store_dwordx2 v[22:23], v[12:13], off
	v_mov_b32_e32 v22, v27
	v_mad_u64_u32 v[22:23], s[0:1], s13, v31, v[22:23]
	v_lshlrev_b64 v[12:13], 3, v[24:25]
	v_add_f32_e32 v14, v14, v15
	v_fma_f32 v15, v33, s3, -v59
	v_fmac_f32_e32 v60, 0xbf27a4f4, v34
	v_add_co_u32_e32 v12, vcc, v29, v12
	v_add_f32_e32 v15, v14, v15
	v_add_f32_e32 v14, v60, v45
	v_fmac_f32_e32 v61, 0xbe11bafb, v36
	v_addc_co_u32_e32 v13, vcc, v30, v13, vcc
	v_mov_b32_e32 v27, v22
	v_add_u32_e32 v22, 0x15f, v28
	v_add_f32_e32 v14, v14, v61
	v_fmac_f32_e32 v62, 0x3f575c64, v38
	global_store_dwordx2 v[12:13], v[10:11], off
	v_mad_u64_u32 v[12:13], s[0:1], s12, v22, 0
	v_add_f32_e32 v14, v14, v62
	v_fmac_f32_e32 v63, 0xbf75a155, v40
	v_add_f32_e32 v14, v14, v63
	v_fmac_f32_e32 v64, 0x3ed4b147, v44
	v_add_f32_e32 v14, v14, v64
	v_mad_u64_u32 v[22:23], s[0:1], s13, v22, v[13:14]
	v_add_u32_e32 v25, 0x1d4, v28
	v_lshlrev_b64 v[10:11], 3, v[26:27]
	v_mad_u64_u32 v[23:24], s[0:1], s12, v25, 0
	v_add_co_u32_e32 v10, vcc, v29, v10
	v_addc_co_u32_e32 v11, vcc, v30, v11, vcc
	global_store_dwordx2 v[10:11], v[8:9], off
	v_mov_b32_e32 v10, v24
	v_mov_b32_e32 v13, v22
	v_mad_u64_u32 v[10:11], s[0:1], s13, v25, v[10:11]
	v_lshlrev_b64 v[8:9], 3, v[12:13]
	v_add_u32_e32 v12, 0x2be, v28
	v_add_co_u32_e32 v8, vcc, v29, v8
	v_addc_co_u32_e32 v9, vcc, v30, v9, vcc
	v_mov_b32_e32 v24, v10
	v_add_u32_e32 v10, 0x249, v28
	global_store_dwordx2 v[8:9], v[6:7], off
	v_mad_u64_u32 v[8:9], s[0:1], s12, v10, 0
	v_lshlrev_b64 v[6:7], 3, v[23:24]
	v_add_f32_e32 v16, v16, v17
	v_mad_u64_u32 v[9:10], s[0:1], s13, v10, v[9:10]
	v_mad_u64_u32 v[10:11], s[0:1], s12, v12, 0
	v_add_co_u32_e32 v6, vcc, v29, v6
	v_addc_co_u32_e32 v7, vcc, v30, v7, vcc
	global_store_dwordx2 v[6:7], v[4:5], off
	v_mov_b32_e32 v6, v11
	v_mad_u64_u32 v[6:7], s[0:1], s13, v12, v[6:7]
	v_lshlrev_b64 v[4:5], 3, v[8:9]
	v_add_u32_e32 v8, 0x3a8, v28
	v_add_co_u32_e32 v4, vcc, v29, v4
	v_addc_co_u32_e32 v5, vcc, v30, v5, vcc
	v_mov_b32_e32 v11, v6
	v_add_u32_e32 v6, 0x333, v28
	global_store_dwordx2 v[4:5], v[2:3], off
	v_mad_u64_u32 v[4:5], s[0:1], s12, v6, 0
	v_lshlrev_b64 v[2:3], 3, v[10:11]
	v_fma_f32 v17, v33, s2, -v69
	v_mad_u64_u32 v[5:6], s[0:1], s13, v6, v[5:6]
	v_mad_u64_u32 v[6:7], s[0:1], s12, v8, 0
	v_add_co_u32_e32 v2, vcc, v29, v2
	v_addc_co_u32_e32 v3, vcc, v30, v3, vcc
	global_store_dwordx2 v[2:3], v[0:1], off
	v_mov_b32_e32 v2, v7
	v_mad_u64_u32 v[2:3], s[0:1], s13, v8, v[2:3]
	v_lshlrev_b64 v[0:1], 3, v[4:5]
	v_add_u32_e32 v4, 0x41d, v28
	v_mov_b32_e32 v7, v2
	v_mad_u64_u32 v[2:3], s[0:1], s12, v4, 0
	v_add_co_u32_e32 v0, vcc, v29, v0
	v_fmac_f32_e32 v70, 0xbe11bafb, v34
	v_addc_co_u32_e32 v1, vcc, v30, v1, vcc
	v_add_f32_e32 v17, v16, v17
	v_add_f32_e32 v16, v70, v45
	v_fmac_f32_e32 v71, 0xbf75a155, v36
	global_store_dwordx2 v[0:1], v[14:15], off
	v_lshlrev_b64 v[0:1], 3, v[6:7]
	v_mad_u64_u32 v[3:4], s[0:1], s13, v4, v[3:4]
	v_add_u32_e32 v6, 0x492, v28
	v_add_f32_e32 v16, v16, v71
	v_fmac_f32_e32 v72, 0x3ed4b147, v38
	v_mad_u64_u32 v[4:5], s[0:1], s12, v6, 0
	v_add_f32_e32 v16, v16, v72
	v_fmac_f32_e32 v73, 0x3f575c64, v40
	v_add_f32_e32 v16, v16, v73
	v_fmac_f32_e32 v74, 0xbf27a4f4, v44
	v_add_co_u32_e32 v0, vcc, v29, v0
	v_add_f32_e32 v16, v16, v74
	v_addc_co_u32_e32 v1, vcc, v30, v1, vcc
	v_fmac_f32_e32 v80, 0x3ed4b147, v34
	global_store_dwordx2 v[0:1], v[16:17], off
	v_lshlrev_b64 v[0:1], 3, v[2:3]
	v_mov_b32_e32 v2, v5
	v_add_f32_e32 v19, v18, v19
	v_add_f32_e32 v18, v80, v45
	v_fmac_f32_e32 v81, 0xbf27a4f4, v36
	v_mad_u64_u32 v[2:3], s[0:1], s13, v6, v[2:3]
	v_add_f32_e32 v18, v18, v81
	v_fmac_f32_e32 v82, 0xbf75a155, v38
	v_add_f32_e32 v18, v18, v82
	v_fmac_f32_e32 v83, 0xbe11bafb, v40
	;; [unrolled: 2-line block ×3, first 2 shown]
	v_add_co_u32_e32 v0, vcc, v29, v0
	v_add_f32_e32 v18, v18, v84
	v_addc_co_u32_e32 v1, vcc, v30, v1, vcc
	v_mov_b32_e32 v5, v2
	global_store_dwordx2 v[0:1], v[18:19], off
	v_lshlrev_b64 v[0:1], 3, v[4:5]
	v_fmac_f32_e32 v55, 0xbf75a155, v44
	v_add_co_u32_e32 v0, vcc, v29, v0
	v_add_f32_e32 v20, v20, v55
	v_addc_co_u32_e32 v1, vcc, v30, v1, vcc
	global_store_dwordx2 v[0:1], v[20:21], off
.LBB0_27:
	s_endpgm
	.section	.rodata,"a",@progbits
	.p2align	6, 0x0
	.amdhsa_kernel fft_rtc_fwd_len1287_factors_3_13_3_11_wgs_117_tpt_117_sp_ip_CI_sbrr_dirReg
		.amdhsa_group_segment_fixed_size 0
		.amdhsa_private_segment_fixed_size 0
		.amdhsa_kernarg_size 88
		.amdhsa_user_sgpr_count 6
		.amdhsa_user_sgpr_private_segment_buffer 1
		.amdhsa_user_sgpr_dispatch_ptr 0
		.amdhsa_user_sgpr_queue_ptr 0
		.amdhsa_user_sgpr_kernarg_segment_ptr 1
		.amdhsa_user_sgpr_dispatch_id 0
		.amdhsa_user_sgpr_flat_scratch_init 0
		.amdhsa_user_sgpr_private_segment_size 0
		.amdhsa_uses_dynamic_stack 0
		.amdhsa_system_sgpr_private_segment_wavefront_offset 0
		.amdhsa_system_sgpr_workgroup_id_x 1
		.amdhsa_system_sgpr_workgroup_id_y 0
		.amdhsa_system_sgpr_workgroup_id_z 0
		.amdhsa_system_sgpr_workgroup_info 0
		.amdhsa_system_vgpr_workitem_id 0
		.amdhsa_next_free_vgpr 129
		.amdhsa_next_free_sgpr 24
		.amdhsa_reserve_vcc 1
		.amdhsa_reserve_flat_scratch 0
		.amdhsa_float_round_mode_32 0
		.amdhsa_float_round_mode_16_64 0
		.amdhsa_float_denorm_mode_32 3
		.amdhsa_float_denorm_mode_16_64 3
		.amdhsa_dx10_clamp 1
		.amdhsa_ieee_mode 1
		.amdhsa_fp16_overflow 0
		.amdhsa_exception_fp_ieee_invalid_op 0
		.amdhsa_exception_fp_denorm_src 0
		.amdhsa_exception_fp_ieee_div_zero 0
		.amdhsa_exception_fp_ieee_overflow 0
		.amdhsa_exception_fp_ieee_underflow 0
		.amdhsa_exception_fp_ieee_inexact 0
		.amdhsa_exception_int_div_zero 0
	.end_amdhsa_kernel
	.text
.Lfunc_end0:
	.size	fft_rtc_fwd_len1287_factors_3_13_3_11_wgs_117_tpt_117_sp_ip_CI_sbrr_dirReg, .Lfunc_end0-fft_rtc_fwd_len1287_factors_3_13_3_11_wgs_117_tpt_117_sp_ip_CI_sbrr_dirReg
                                        ; -- End function
	.section	.AMDGPU.csdata,"",@progbits
; Kernel info:
; codeLenInByte = 9792
; NumSgprs: 28
; NumVgprs: 129
; ScratchSize: 0
; MemoryBound: 0
; FloatMode: 240
; IeeeMode: 1
; LDSByteSize: 0 bytes/workgroup (compile time only)
; SGPRBlocks: 3
; VGPRBlocks: 32
; NumSGPRsForWavesPerEU: 28
; NumVGPRsForWavesPerEU: 129
; Occupancy: 1
; WaveLimiterHint : 1
; COMPUTE_PGM_RSRC2:SCRATCH_EN: 0
; COMPUTE_PGM_RSRC2:USER_SGPR: 6
; COMPUTE_PGM_RSRC2:TRAP_HANDLER: 0
; COMPUTE_PGM_RSRC2:TGID_X_EN: 1
; COMPUTE_PGM_RSRC2:TGID_Y_EN: 0
; COMPUTE_PGM_RSRC2:TGID_Z_EN: 0
; COMPUTE_PGM_RSRC2:TIDIG_COMP_CNT: 0
	.type	__hip_cuid_80dacdb0f09c9030,@object ; @__hip_cuid_80dacdb0f09c9030
	.section	.bss,"aw",@nobits
	.globl	__hip_cuid_80dacdb0f09c9030
__hip_cuid_80dacdb0f09c9030:
	.byte	0                               ; 0x0
	.size	__hip_cuid_80dacdb0f09c9030, 1

	.ident	"AMD clang version 19.0.0git (https://github.com/RadeonOpenCompute/llvm-project roc-6.4.0 25133 c7fe45cf4b819c5991fe208aaa96edf142730f1d)"
	.section	".note.GNU-stack","",@progbits
	.addrsig
	.addrsig_sym __hip_cuid_80dacdb0f09c9030
	.amdgpu_metadata
---
amdhsa.kernels:
  - .args:
      - .actual_access:  read_only
        .address_space:  global
        .offset:         0
        .size:           8
        .value_kind:     global_buffer
      - .offset:         8
        .size:           8
        .value_kind:     by_value
      - .actual_access:  read_only
        .address_space:  global
        .offset:         16
        .size:           8
        .value_kind:     global_buffer
      - .actual_access:  read_only
        .address_space:  global
        .offset:         24
        .size:           8
        .value_kind:     global_buffer
      - .offset:         32
        .size:           8
        .value_kind:     by_value
      - .actual_access:  read_only
        .address_space:  global
        .offset:         40
        .size:           8
        .value_kind:     global_buffer
      - .actual_access:  read_only
        .address_space:  global
        .offset:         48
        .size:           8
        .value_kind:     global_buffer
      - .offset:         56
        .size:           4
        .value_kind:     by_value
      - .actual_access:  read_only
        .address_space:  global
        .offset:         64
        .size:           8
        .value_kind:     global_buffer
      - .actual_access:  read_only
        .address_space:  global
        .offset:         72
        .size:           8
        .value_kind:     global_buffer
      - .address_space:  global
        .offset:         80
        .size:           8
        .value_kind:     global_buffer
    .group_segment_fixed_size: 0
    .kernarg_segment_align: 8
    .kernarg_segment_size: 88
    .language:       OpenCL C
    .language_version:
      - 2
      - 0
    .max_flat_workgroup_size: 117
    .name:           fft_rtc_fwd_len1287_factors_3_13_3_11_wgs_117_tpt_117_sp_ip_CI_sbrr_dirReg
    .private_segment_fixed_size: 0
    .sgpr_count:     28
    .sgpr_spill_count: 0
    .symbol:         fft_rtc_fwd_len1287_factors_3_13_3_11_wgs_117_tpt_117_sp_ip_CI_sbrr_dirReg.kd
    .uniform_work_group_size: 1
    .uses_dynamic_stack: false
    .vgpr_count:     129
    .vgpr_spill_count: 0
    .wavefront_size: 64
amdhsa.target:   amdgcn-amd-amdhsa--gfx906
amdhsa.version:
  - 1
  - 2
...

	.end_amdgpu_metadata
